;; amdgpu-corpus repo=ROCm/rocFFT kind=compiled arch=gfx1030 opt=O3
	.text
	.amdgcn_target "amdgcn-amd-amdhsa--gfx1030"
	.amdhsa_code_object_version 6
	.protected	fft_rtc_back_len224_factors_7_2_2_2_2_2_wgs_64_tpt_16_halfLds_dp_ip_CI_unitstride_sbrr_dirReg ; -- Begin function fft_rtc_back_len224_factors_7_2_2_2_2_2_wgs_64_tpt_16_halfLds_dp_ip_CI_unitstride_sbrr_dirReg
	.globl	fft_rtc_back_len224_factors_7_2_2_2_2_2_wgs_64_tpt_16_halfLds_dp_ip_CI_unitstride_sbrr_dirReg
	.p2align	8
	.type	fft_rtc_back_len224_factors_7_2_2_2_2_2_wgs_64_tpt_16_halfLds_dp_ip_CI_unitstride_sbrr_dirReg,@function
fft_rtc_back_len224_factors_7_2_2_2_2_2_wgs_64_tpt_16_halfLds_dp_ip_CI_unitstride_sbrr_dirReg: ; @fft_rtc_back_len224_factors_7_2_2_2_2_2_wgs_64_tpt_16_halfLds_dp_ip_CI_unitstride_sbrr_dirReg
; %bb.0:
	s_clause 0x2
	s_load_dwordx4 s[8:11], s[4:5], 0x0
	s_load_dwordx2 s[2:3], s[4:5], 0x50
	s_load_dwordx2 s[12:13], s[4:5], 0x18
	v_lshrrev_b32_e32 v57, 4, v0
	v_mov_b32_e32 v3, 0
	v_mov_b32_e32 v1, 0
	;; [unrolled: 1-line block ×3, first 2 shown]
	v_lshl_or_b32 v5, s6, 2, v57
	v_mov_b32_e32 v6, v3
	s_waitcnt lgkmcnt(0)
	v_cmp_lt_u64_e64 s0, s[10:11], 2
	s_and_b32 vcc_lo, exec_lo, s0
	s_cbranch_vccnz .LBB0_8
; %bb.1:
	s_load_dwordx2 s[0:1], s[4:5], 0x10
	v_mov_b32_e32 v1, 0
	s_add_u32 s6, s12, 8
	v_mov_b32_e32 v2, 0
	s_addc_u32 s7, s13, 0
	s_mov_b64 s[16:17], 1
	s_waitcnt lgkmcnt(0)
	s_add_u32 s14, s0, 8
	s_addc_u32 s15, s1, 0
.LBB0_2:                                ; =>This Inner Loop Header: Depth=1
	s_load_dwordx2 s[18:19], s[14:15], 0x0
                                        ; implicit-def: $vgpr7_vgpr8
	s_mov_b32 s0, exec_lo
	s_waitcnt lgkmcnt(0)
	v_or_b32_e32 v4, s19, v6
	v_cmpx_ne_u64_e32 0, v[3:4]
	s_xor_b32 s1, exec_lo, s0
	s_cbranch_execz .LBB0_4
; %bb.3:                                ;   in Loop: Header=BB0_2 Depth=1
	v_cvt_f32_u32_e32 v4, s18
	v_cvt_f32_u32_e32 v7, s19
	s_sub_u32 s0, 0, s18
	s_subb_u32 s20, 0, s19
	v_fmac_f32_e32 v4, 0x4f800000, v7
	v_rcp_f32_e32 v4, v4
	v_mul_f32_e32 v4, 0x5f7ffffc, v4
	v_mul_f32_e32 v7, 0x2f800000, v4
	v_trunc_f32_e32 v7, v7
	v_fmac_f32_e32 v4, 0xcf800000, v7
	v_cvt_u32_f32_e32 v7, v7
	v_cvt_u32_f32_e32 v4, v4
	v_mul_lo_u32 v8, s0, v7
	v_mul_hi_u32 v9, s0, v4
	v_mul_lo_u32 v10, s20, v4
	v_add_nc_u32_e32 v8, v9, v8
	v_mul_lo_u32 v9, s0, v4
	v_add_nc_u32_e32 v8, v8, v10
	v_mul_hi_u32 v10, v4, v9
	v_mul_lo_u32 v11, v4, v8
	v_mul_hi_u32 v12, v4, v8
	v_mul_hi_u32 v13, v7, v9
	v_mul_lo_u32 v9, v7, v9
	v_mul_hi_u32 v14, v7, v8
	v_mul_lo_u32 v8, v7, v8
	v_add_co_u32 v10, vcc_lo, v10, v11
	v_add_co_ci_u32_e32 v11, vcc_lo, 0, v12, vcc_lo
	v_add_co_u32 v9, vcc_lo, v10, v9
	v_add_co_ci_u32_e32 v9, vcc_lo, v11, v13, vcc_lo
	v_add_co_ci_u32_e32 v10, vcc_lo, 0, v14, vcc_lo
	v_add_co_u32 v8, vcc_lo, v9, v8
	v_add_co_ci_u32_e32 v9, vcc_lo, 0, v10, vcc_lo
	v_add_co_u32 v4, vcc_lo, v4, v8
	v_add_co_ci_u32_e32 v7, vcc_lo, v7, v9, vcc_lo
	v_mul_hi_u32 v8, s0, v4
	v_mul_lo_u32 v10, s20, v4
	v_mul_lo_u32 v9, s0, v7
	v_add_nc_u32_e32 v8, v8, v9
	v_mul_lo_u32 v9, s0, v4
	v_add_nc_u32_e32 v8, v8, v10
	v_mul_hi_u32 v10, v4, v9
	v_mul_lo_u32 v11, v4, v8
	v_mul_hi_u32 v12, v4, v8
	v_mul_hi_u32 v13, v7, v9
	v_mul_lo_u32 v9, v7, v9
	v_mul_hi_u32 v14, v7, v8
	v_mul_lo_u32 v8, v7, v8
	v_add_co_u32 v10, vcc_lo, v10, v11
	v_add_co_ci_u32_e32 v11, vcc_lo, 0, v12, vcc_lo
	v_add_co_u32 v9, vcc_lo, v10, v9
	v_add_co_ci_u32_e32 v9, vcc_lo, v11, v13, vcc_lo
	v_add_co_ci_u32_e32 v10, vcc_lo, 0, v14, vcc_lo
	v_add_co_u32 v8, vcc_lo, v9, v8
	v_add_co_ci_u32_e32 v9, vcc_lo, 0, v10, vcc_lo
	v_add_co_u32 v4, vcc_lo, v4, v8
	v_add_co_ci_u32_e32 v11, vcc_lo, v7, v9, vcc_lo
	v_mul_hi_u32 v13, v5, v4
	v_mad_u64_u32 v[9:10], null, v6, v4, 0
	v_mad_u64_u32 v[7:8], null, v5, v11, 0
	;; [unrolled: 1-line block ×3, first 2 shown]
	v_add_co_u32 v4, vcc_lo, v13, v7
	v_add_co_ci_u32_e32 v7, vcc_lo, 0, v8, vcc_lo
	v_add_co_u32 v4, vcc_lo, v4, v9
	v_add_co_ci_u32_e32 v4, vcc_lo, v7, v10, vcc_lo
	v_add_co_ci_u32_e32 v7, vcc_lo, 0, v12, vcc_lo
	v_add_co_u32 v4, vcc_lo, v4, v11
	v_add_co_ci_u32_e32 v9, vcc_lo, 0, v7, vcc_lo
	v_mul_lo_u32 v10, s19, v4
	v_mad_u64_u32 v[7:8], null, s18, v4, 0
	v_mul_lo_u32 v11, s18, v9
	v_sub_co_u32 v7, vcc_lo, v5, v7
	v_add3_u32 v8, v8, v11, v10
	v_sub_nc_u32_e32 v10, v6, v8
	v_subrev_co_ci_u32_e64 v10, s0, s19, v10, vcc_lo
	v_add_co_u32 v11, s0, v4, 2
	v_add_co_ci_u32_e64 v12, s0, 0, v9, s0
	v_sub_co_u32 v13, s0, v7, s18
	v_sub_co_ci_u32_e32 v8, vcc_lo, v6, v8, vcc_lo
	v_subrev_co_ci_u32_e64 v10, s0, 0, v10, s0
	v_cmp_le_u32_e32 vcc_lo, s18, v13
	v_cmp_eq_u32_e64 s0, s19, v8
	v_cndmask_b32_e64 v13, 0, -1, vcc_lo
	v_cmp_le_u32_e32 vcc_lo, s19, v10
	v_cndmask_b32_e64 v14, 0, -1, vcc_lo
	v_cmp_le_u32_e32 vcc_lo, s18, v7
	;; [unrolled: 2-line block ×3, first 2 shown]
	v_cndmask_b32_e64 v15, 0, -1, vcc_lo
	v_cmp_eq_u32_e32 vcc_lo, s19, v10
	v_cndmask_b32_e64 v7, v15, v7, s0
	v_cndmask_b32_e32 v10, v14, v13, vcc_lo
	v_add_co_u32 v13, vcc_lo, v4, 1
	v_add_co_ci_u32_e32 v14, vcc_lo, 0, v9, vcc_lo
	v_cmp_ne_u32_e32 vcc_lo, 0, v10
	v_cndmask_b32_e32 v8, v14, v12, vcc_lo
	v_cndmask_b32_e32 v10, v13, v11, vcc_lo
	v_cmp_ne_u32_e32 vcc_lo, 0, v7
	v_cndmask_b32_e32 v8, v9, v8, vcc_lo
	v_cndmask_b32_e32 v7, v4, v10, vcc_lo
.LBB0_4:                                ;   in Loop: Header=BB0_2 Depth=1
	s_andn2_saveexec_b32 s0, s1
	s_cbranch_execz .LBB0_6
; %bb.5:                                ;   in Loop: Header=BB0_2 Depth=1
	v_cvt_f32_u32_e32 v4, s18
	s_sub_i32 s1, 0, s18
	v_rcp_iflag_f32_e32 v4, v4
	v_mul_f32_e32 v4, 0x4f7ffffe, v4
	v_cvt_u32_f32_e32 v4, v4
	v_mul_lo_u32 v7, s1, v4
	v_mul_hi_u32 v7, v4, v7
	v_add_nc_u32_e32 v4, v4, v7
	v_mul_hi_u32 v4, v5, v4
	v_mul_lo_u32 v7, v4, s18
	v_add_nc_u32_e32 v8, 1, v4
	v_sub_nc_u32_e32 v7, v5, v7
	v_subrev_nc_u32_e32 v9, s18, v7
	v_cmp_le_u32_e32 vcc_lo, s18, v7
	v_cndmask_b32_e32 v7, v7, v9, vcc_lo
	v_cndmask_b32_e32 v4, v4, v8, vcc_lo
	v_cmp_le_u32_e32 vcc_lo, s18, v7
	v_add_nc_u32_e32 v8, 1, v4
	v_cndmask_b32_e32 v7, v4, v8, vcc_lo
	v_mov_b32_e32 v8, v3
.LBB0_6:                                ;   in Loop: Header=BB0_2 Depth=1
	s_or_b32 exec_lo, exec_lo, s0
	s_load_dwordx2 s[0:1], s[6:7], 0x0
	v_mul_lo_u32 v4, v8, s18
	v_mul_lo_u32 v11, v7, s19
	v_mad_u64_u32 v[9:10], null, v7, s18, 0
	s_add_u32 s16, s16, 1
	s_addc_u32 s17, s17, 0
	s_add_u32 s6, s6, 8
	s_addc_u32 s7, s7, 0
	;; [unrolled: 2-line block ×3, first 2 shown]
	v_add3_u32 v4, v10, v11, v4
	v_sub_co_u32 v5, vcc_lo, v5, v9
	v_sub_co_ci_u32_e32 v4, vcc_lo, v6, v4, vcc_lo
	s_waitcnt lgkmcnt(0)
	v_mul_lo_u32 v6, s1, v5
	v_mul_lo_u32 v4, s0, v4
	v_mad_u64_u32 v[1:2], null, s0, v5, v[1:2]
	v_cmp_ge_u64_e64 s0, s[16:17], s[10:11]
	s_and_b32 vcc_lo, exec_lo, s0
	v_add3_u32 v2, v6, v2, v4
	s_cbranch_vccnz .LBB0_9
; %bb.7:                                ;   in Loop: Header=BB0_2 Depth=1
	v_mov_b32_e32 v5, v7
	v_mov_b32_e32 v6, v8
	s_branch .LBB0_2
.LBB0_8:
	v_mov_b32_e32 v8, v6
	v_mov_b32_e32 v7, v5
.LBB0_9:
	s_lshl_b64 s[0:1], s[10:11], 3
	v_and_b32_e32 v64, 15, v0
	s_add_u32 s0, s12, s0
	s_addc_u32 s1, s13, s1
	s_load_dwordx2 s[0:1], s[0:1], 0x0
	s_load_dwordx2 s[4:5], s[4:5], 0x20
	v_or_b32_e32 v68, 16, v64
	v_or_b32_e32 v66, 32, v64
	;; [unrolled: 1-line block ×6, first 2 shown]
	s_waitcnt lgkmcnt(0)
	v_mul_lo_u32 v3, s0, v8
	v_mul_lo_u32 v4, s1, v7
	v_mad_u64_u32 v[0:1], null, s0, v7, v[1:2]
	v_cmp_gt_u64_e32 vcc_lo, s[4:5], v[7:8]
	v_cmp_le_u64_e64 s0, s[4:5], v[7:8]
	v_add3_u32 v1, v4, v1, v3
	s_and_saveexec_b32 s1, s0
	s_xor_b32 s0, exec_lo, s1
; %bb.10:
	v_mov_b32_e32 v65, 0
	v_or_b32_e32 v68, 16, v64
	v_or_b32_e32 v66, 32, v64
	;; [unrolled: 1-line block ×6, first 2 shown]
	v_mov_b32_e32 v69, v65
	v_mov_b32_e32 v67, v65
; %bb.11:
	s_or_saveexec_b32 s1, s0
	v_lshlrev_b64 v[60:61], 4, v[0:1]
	v_lshlrev_b32_e32 v82, 4, v64
                                        ; implicit-def: $vgpr30_vgpr31
                                        ; implicit-def: $vgpr22_vgpr23
                                        ; implicit-def: $vgpr18_vgpr19
                                        ; implicit-def: $vgpr14_vgpr15
                                        ; implicit-def: $vgpr10_vgpr11
                                        ; implicit-def: $vgpr26_vgpr27
                                        ; implicit-def: $vgpr2_vgpr3
                                        ; implicit-def: $vgpr54_vgpr55
                                        ; implicit-def: $vgpr38_vgpr39
                                        ; implicit-def: $vgpr34_vgpr35
                                        ; implicit-def: $vgpr50_vgpr51
                                        ; implicit-def: $vgpr46_vgpr47
                                        ; implicit-def: $vgpr42_vgpr43
                                        ; implicit-def: $vgpr6_vgpr7
	s_xor_b32 exec_lo, exec_lo, s1
	s_cbranch_execz .LBB0_13
; %bb.12:
	v_or_b32_e32 v0, 0x800, v82
	v_add_co_u32 v14, s0, s2, v60
	v_add_co_ci_u32_e64 v15, s0, s3, v61, s0
	v_or_b32_e32 v2, 0xa00, v82
	v_add_co_u32 v0, s0, v14, v0
	v_add_co_ci_u32_e64 v1, s0, 0, v15, s0
	v_add_co_u32 v2, s0, v14, v2
	v_or_b32_e32 v4, 0xc00, v82
	v_add_co_ci_u32_e64 v3, s0, 0, v15, s0
	v_add_co_u32 v12, s0, v14, v82
	v_or_b32_e32 v18, 0x900, v82
	;; [unrolled: 3-line block ×4, first 2 shown]
	v_add_co_ci_u32_e64 v19, s0, 0, v15, s0
	v_add_co_u32 v20, s0, v14, v20
	v_add_co_ci_u32_e64 v21, s0, 0, v15, s0
	v_add_co_u32 v28, s0, v14, v22
	v_add_co_ci_u32_e64 v29, s0, 0, v15, s0
	s_clause 0xd
	global_load_dwordx4 v[32:35], v[0:1], off
	global_load_dwordx4 v[36:39], v[2:3], off
	global_load_dwordx4 v[4:7], v[12:13], off
	global_load_dwordx4 v[0:3], v[12:13], off offset:256
	global_load_dwordx4 v[40:43], v[12:13], off offset:512
	;; [unrolled: 1-line block ×7, first 2 shown]
	global_load_dwordx4 v[52:55], v[16:17], off
	global_load_dwordx4 v[16:19], v[18:19], off
	;; [unrolled: 1-line block ×4, first 2 shown]
	v_mov_b32_e32 v65, 0
	v_mov_b32_e32 v67, v65
	;; [unrolled: 1-line block ×3, first 2 shown]
.LBB0_13:
	s_or_b32 exec_lo, exec_lo, s1
	s_waitcnt vmcnt(3)
	v_add_f64 v[72:73], v[52:53], v[40:41]
	v_add_f64 v[74:75], v[36:37], v[44:45]
	v_add_f64 v[78:79], v[46:47], -v[38:39]
	v_add_f64 v[76:77], v[34:35], -v[50:51]
	;; [unrolled: 1-line block ×3, first 2 shown]
	v_add_f64 v[80:81], v[32:33], v[48:49]
	v_add_f64 v[38:39], v[38:39], v[46:47]
	v_add_f64 v[36:37], v[44:45], -v[36:37]
	v_add_f64 v[32:33], v[32:33], -v[48:49]
	s_waitcnt vmcnt(0)
	v_add_f64 v[44:45], v[28:29], v[24:25]
	v_add_f64 v[46:47], v[20:21], v[8:9]
	;; [unrolled: 1-line block ×3, first 2 shown]
	v_add_f64 v[26:27], v[26:27], -v[30:31]
	v_add_f64 v[42:43], v[54:55], v[42:43]
	v_add_f64 v[40:41], v[40:41], -v[52:53]
	v_add_f64 v[34:35], v[34:35], v[50:51]
	;; [unrolled: 2-line block ×3, first 2 shown]
	v_add_f64 v[8:9], v[8:9], -v[20:21]
	v_add_f64 v[21:22], v[10:11], -v[22:23]
	v_add_f64 v[50:51], v[16:17], v[12:13]
	v_add_f64 v[52:53], v[18:19], v[14:15]
	v_add_f64 v[11:12], v[16:17], -v[12:13]
	v_add_f64 v[30:31], v[74:75], v[72:73]
	v_add_f64 v[13:14], v[18:19], -v[14:15]
	v_add_f64 v[17:18], v[76:77], -v[78:79]
	;; [unrolled: 1-line block ×4, first 2 shown]
	s_mov_b32 s6, 0xe976ee23
	s_mov_b32 s0, 0x429ad128
	;; [unrolled: 1-line block ×4, first 2 shown]
	v_add_f64 v[15:16], v[46:47], v[44:45]
	s_mov_b32 s7, 0x3fe11646
	s_mov_b32 s1, 0xbfebfeb5
	;; [unrolled: 1-line block ×4, first 2 shown]
	v_add_f64 v[78:79], v[76:77], v[78:79]
	v_add_f64 v[72:73], v[74:75], -v[72:73]
	s_mov_b32 s10, 0xb247c609
	s_mov_b32 s22, 0x5476071b
	v_add_f64 v[87:88], v[21:22], -v[26:27]
	v_add_f64 v[89:90], v[44:45], -v[50:51]
	;; [unrolled: 1-line block ×3, first 2 shown]
	s_mov_b32 s20, 0xaaaaaaaa
	v_add_f64 v[30:31], v[80:81], v[30:31]
	v_add_f64 v[80:81], v[80:81], -v[74:75]
	v_add_f64 v[85:86], v[13:14], -v[21:22]
	v_mul_f64 v[17:18], v[17:18], s[6:7]
	v_mul_f64 v[83:84], v[83:84], s[12:13]
	s_mov_b32 s11, 0xbfd5d0dc
	s_mov_b32 s15, 0x3fd5d0dc
	;; [unrolled: 1-line block ×4, first 2 shown]
	v_add_f64 v[15:16], v[50:51], v[15:16]
	v_add_f64 v[50:51], v[70:71], -v[76:77]
	v_mul_f64 v[76:77], v[54:55], s[0:1]
	s_mov_b32 s21, 0xbff2aaaa
	s_mov_b32 s14, s10
	;; [unrolled: 1-line block ×3, first 2 shown]
	v_add_f64 v[21:22], v[13:14], v[21:22]
	v_add_f64 v[44:45], v[46:47], -v[44:45]
	v_add_f64 v[46:47], v[38:39], v[42:43]
	v_add_f64 v[13:14], v[26:27], -v[13:14]
	v_add_f64 v[70:71], v[78:79], v[70:71]
	v_mul_f64 v[78:79], v[87:88], s[0:1]
	v_mul_f64 v[89:90], v[89:90], s[12:13]
	v_add_f64 v[4:5], v[4:5], v[30:31]
	v_mul_f64 v[74:75], v[80:81], s[4:5]
	v_mul_f64 v[85:86], v[85:86], s[6:7]
	;; [unrolled: 1-line block ×3, first 2 shown]
	v_fma_f64 v[54:55], v[54:55], s[0:1], -v[17:18]
	s_mov_b32 s16, 0x37c3f68c
	s_mov_b32 s17, 0xbfdc38aa
	v_add_f64 v[97:98], v[32:33], -v[36:37]
	v_add_f64 v[95:96], v[34:35], -v[38:39]
	v_add_f64 v[0:1], v[0:1], v[15:16]
	v_fma_f64 v[17:18], v[50:51], s[10:11], v[17:18]
	v_fma_f64 v[50:51], v[50:51], s[14:15], -v[76:77]
	v_fma_f64 v[76:77], v[80:81], s[4:5], v[83:84]
	v_fma_f64 v[80:81], v[72:73], s[18:19], -v[83:84]
	v_add_f64 v[83:84], v[42:43], -v[34:35]
	v_add_f64 v[21:22], v[21:22], v[26:27]
	v_add_f64 v[38:39], v[38:39], -v[42:43]
	v_add_f64 v[26:27], v[34:35], v[46:47]
	v_add_f64 v[42:43], v[28:29], -v[48:49]
	v_add_f64 v[99:100], v[36:37], -v[40:41]
	v_add_f64 v[36:37], v[32:33], v[36:37]
	v_add_f64 v[32:33], v[40:41], -v[32:33]
	v_fma_f64 v[30:31], v[30:31], s[20:21], v[4:5]
	v_fma_f64 v[72:73], v[72:73], s[22:23], -v[74:75]
	v_add_f64 v[74:75], v[28:29], v[48:49]
	v_fma_f64 v[34:35], v[87:88], s[0:1], -v[85:86]
	v_fma_f64 v[46:47], v[13:14], s[10:11], v[85:86]
	v_fma_f64 v[13:14], v[13:14], s[14:15], -v[78:79]
	v_fma_f64 v[78:79], v[91:92], s[4:5], v[89:90]
	v_fma_f64 v[85:86], v[44:45], s[22:23], -v[93:94]
	v_fma_f64 v[44:45], v[44:45], s[18:19], -v[89:90]
	v_fma_f64 v[15:16], v[15:16], s[20:21], v[0:1]
	v_fma_f64 v[17:18], v[70:71], s[16:17], v[17:18]
	v_fma_f64 v[54:55], v[70:71], s[16:17], v[54:55]
	v_fma_f64 v[50:51], v[70:71], s[16:17], v[50:51]
	v_add_f64 v[48:49], v[48:49], -v[52:53]
	v_add_f64 v[28:29], v[52:53], -v[28:29]
	v_mul_f64 v[87:88], v[95:96], s[4:5]
	v_mul_u32_u24_e32 v10, 0xe0, v57
	v_add_f64 v[91:92], v[6:7], v[26:27]
	v_lshlrev_b32_e32 v20, 3, v64
	v_mul_f64 v[89:90], v[99:100], s[0:1]
	v_lshlrev_b32_e32 v10, 3, v10
	v_add_f64 v[70:71], v[76:77], v[30:31]
	v_add_f64 v[76:77], v[80:81], v[30:31]
	;; [unrolled: 1-line block ×3, first 2 shown]
	v_add_f64 v[72:73], v[11:12], -v[8:9]
	v_add_f64 v[52:53], v[52:53], v[74:75]
	v_add_f64 v[80:81], v[8:9], -v[24:25]
	v_mul_f64 v[74:75], v[83:84], s[12:13]
	v_mul_f64 v[83:84], v[97:98], s[6:7]
	v_add_f64 v[8:9], v[11:12], v[8:9]
	v_fma_f64 v[6:7], v[21:22], s[16:17], v[46:47]
	v_add_f64 v[46:47], v[78:79], v[15:16]
	v_fma_f64 v[34:35], v[21:22], s[16:17], v[34:35]
	v_fma_f64 v[13:14], v[21:22], s[16:17], v[13:14]
	v_add_f64 v[21:22], v[85:86], v[15:16]
	v_add_f64 v[15:16], v[44:45], v[15:16]
	v_add_f64 v[11:12], v[24:25], -v[11:12]
	v_add_nc_u32_e32 v19, 0, v10
	v_fma_f64 v[26:27], v[26:27], s[20:21], v[91:92]
	v_fma_f64 v[87:88], v[38:39], s[22:23], -v[87:88]
	v_mad_u32_u24 v57, v64, 56, v19
	v_add_f64 v[44:45], v[17:18], v[70:71]
	v_add_f64 v[78:79], v[50:51], v[76:77]
	v_add_f64 v[85:86], v[30:31], -v[54:55]
	v_add_f64 v[30:31], v[54:55], v[30:31]
	v_add_f64 v[50:51], v[76:77], -v[50:51]
	v_add_f64 v[54:55], v[36:37], v[40:41]
	v_mul_f64 v[36:37], v[28:29], s[4:5]
	v_add_f64 v[76:77], v[2:3], v[52:53]
	v_mul_f64 v[2:3], v[72:73], s[6:7]
	v_mul_f64 v[40:41], v[48:49], s[12:13]
	;; [unrolled: 1-line block ×3, first 2 shown]
	v_fma_f64 v[72:73], v[95:96], s[4:5], v[74:75]
	v_fma_f64 v[93:94], v[32:33], s[10:11], v[83:84]
	v_add_f64 v[17:18], v[70:71], -v[17:18]
	v_fma_f64 v[74:75], v[38:39], s[18:19], -v[74:75]
	v_add_f64 v[38:39], v[6:7], v[46:47]
	v_fma_f64 v[32:33], v[32:33], s[14:15], -v[89:90]
	v_add_f64 v[70:71], v[21:22], -v[34:35]
	v_add_f64 v[21:22], v[34:35], v[21:22]
	v_add_f64 v[34:35], v[13:14], v[15:16]
	v_add_f64 v[13:14], v[15:16], -v[13:14]
	ds_write2_b64 v57, v[4:5], v[44:45] offset1:1
	ds_write2_b64 v57, v[78:79], v[85:86] offset0:2 offset1:3
	ds_write2_b64 v57, v[30:31], v[50:51] offset0:4 offset1:5
	v_fma_f64 v[4:5], v[99:100], s[0:1], -v[83:84]
	v_add_f64 v[8:9], v[8:9], v[24:25]
	v_mad_i32_i24 v59, v68, 56, v19
	v_fma_f64 v[15:16], v[42:43], s[22:23], -v[36:37]
	v_fma_f64 v[23:24], v[52:53], s[20:21], v[76:77]
	v_fma_f64 v[30:31], v[80:81], s[0:1], -v[2:3]
	v_fma_f64 v[43:44], v[42:43], s[18:19], -v[40:41]
	v_fma_f64 v[28:29], v[28:29], s[4:5], v[40:41]
	v_fma_f64 v[2:3], v[11:12], s[10:11], v[2:3]
	v_fma_f64 v[11:12], v[11:12], s[14:15], -v[48:49]
	v_add_f64 v[6:7], v[46:47], -v[6:7]
	ds_write_b64 v57, v[17:18] offset:48
	ds_write2_b64 v59, v[0:1], v[38:39] offset1:1
	v_fma_f64 v[17:18], v[54:55], s[16:17], v[93:94]
	v_add_f64 v[45:46], v[72:73], v[26:27]
	v_fma_f64 v[32:33], v[54:55], s[16:17], v[32:33]
	v_add_nc_u32_e32 v40, v19, v20
	ds_write2_b64 v59, v[34:35], v[70:71] offset0:2 offset1:3
	v_add_f64 v[34:35], v[87:88], v[26:27]
	v_add_f64 v[25:26], v[74:75], v[26:27]
	ds_write2_b64 v59, v[21:22], v[13:14] offset0:4 offset1:5
	ds_write_b64 v59, v[6:7] offset:48
	v_fma_f64 v[47:48], v[54:55], s[16:17], v[4:5]
	v_add_f64 v[15:16], v[15:16], v[23:24]
	v_add_f64 v[49:50], v[43:44], v[23:24]
	;; [unrolled: 1-line block ×3, first 2 shown]
	v_fma_f64 v[27:28], v[8:9], s[16:17], v[2:3]
	v_fma_f64 v[30:31], v[8:9], s[16:17], v[30:31]
	;; [unrolled: 1-line block ×3, first 2 shown]
	v_add_f64 v[21:22], v[45:46], -v[17:18]
	v_add_f64 v[70:71], v[17:18], v[45:46]
	v_add_f64 v[51:52], v[25:26], -v[32:33]
	v_add_f64 v[25:26], v[32:33], v[25:26]
	v_mul_lo_u16 v17, v64, 37
	v_lshl_add_u32 v41, v66, 3, v19
	v_lshl_add_u32 v37, v56, 3, v19
	v_mad_i32_i24 v44, 0xffffffd0, v64, v57
	v_lshl_add_u32 v38, v58, 3, v19
	v_lshrrev_b16 v55, 8, v17
	v_mad_i32_i24 v43, 0xffffffd0, v68, v59
	v_lshl_add_u32 v39, v62, 3, v19
	v_lshl_add_u32 v42, v63, 3, v19
	s_waitcnt lgkmcnt(0)
	v_mul_lo_u16 v17, v55, 7
	v_add_f64 v[53:54], v[47:48], v[34:35]
	v_add_f64 v[35:36], v[34:35], -v[47:48]
	s_barrier
	buffer_gl0_inv
	v_add_f64 v[78:79], v[23:24], -v[27:28]
	v_add_f64 v[72:73], v[30:31], v[15:16]
	v_add_f64 v[80:81], v[49:50], -v[11:12]
	v_add_f64 v[74:75], v[15:16], -v[30:31]
	v_add_f64 v[11:12], v[11:12], v[49:50]
	v_add_f64 v[23:24], v[27:28], v[23:24]
	v_sub_nc_u16 v97, v64, v17
	v_mov_b32_e32 v17, 4
	ds_read_b64 v[0:1], v40
	ds_read_b64 v[2:3], v37
	;; [unrolled: 1-line block ×7, first 2 shown]
	ds_read_b64 v[95:96], v44 offset:1664
	ds_read2_b64 v[27:30], v44 offset0:112 offset1:128
	ds_read2_b64 v[31:34], v44 offset0:144 offset1:160
	;; [unrolled: 1-line block ×3, first 2 shown]
	s_waitcnt lgkmcnt(0)
	s_barrier
	buffer_gl0_inv
	ds_write2_b64 v57, v[91:92], v[21:22] offset1:1
	ds_write2_b64 v57, v[51:52], v[53:54] offset0:2 offset1:3
	ds_write2_b64 v57, v[35:36], v[25:26] offset0:4 offset1:5
	ds_write_b64 v57, v[70:71] offset:48
	ds_write2_b64 v59, v[76:77], v[78:79] offset1:1
	ds_write2_b64 v59, v[80:81], v[72:73] offset0:2 offset1:3
	ds_write2_b64 v59, v[74:75], v[11:12] offset0:4 offset1:5
	v_lshlrev_b32_sdwa v11, v17, v97 dst_sel:DWORD dst_unused:UNUSED_PAD src0_sel:DWORD src1_sel:BYTE_0
	v_and_b32_e32 v25, 0xff, v68
	v_and_b32_e32 v26, 0xff, v66
	ds_write_b64 v59, v[23:24] offset:48
	s_waitcnt lgkmcnt(0)
	s_barrier
	buffer_gl0_inv
	global_load_dwordx4 v[49:52], v11, s[8:9]
	v_mul_lo_u16 v11, v25, 37
	v_and_b32_e32 v18, 0xff, v56
	v_and_b32_e32 v23, 0xff, v58
	;; [unrolled: 1-line block ×3, first 2 shown]
	v_cmp_gt_u32_e64 s0, 14, v64
	v_lshrrev_b16 v11, 8, v11
	v_lshrrev_b16 v25, 1, v25
	v_mad_u32_u24 v55, 0x70, v55, 0
	v_sub_nc_u16 v12, v68, v11
	v_mul_lo_u16 v25, 0x93, v25
	v_lshrrev_b16 v12, 1, v12
	v_and_b32_e32 v12, 0x7f, v12
	v_add_nc_u16 v11, v12, v11
	v_mul_lo_u16 v12, v18, 37
	v_lshrrev_b16 v57, 2, v11
	v_lshrrev_b16 v12, 8, v12
	v_mul_lo_u16 v11, v57, 7
	v_sub_nc_u16 v22, v56, v12
	v_and_b32_e32 v57, 0xffff, v57
	v_sub_nc_u16 v59, v68, v11
	v_lshrrev_b16 v22, 1, v22
	v_mad_u32_u24 v57, 0x70, v57, 0
	v_lshlrev_b32_sdwa v11, v17, v59 dst_sel:DWORD dst_unused:UNUSED_PAD src0_sel:DWORD src1_sel:BYTE_0
	v_and_b32_e32 v22, 0x7f, v22
	global_load_dwordx4 v[70:73], v11, s[8:9]
	v_mul_lo_u16 v11, v26, 37
	v_add_nc_u16 v12, v22, v12
	v_and_b32_e32 v22, 0xff, v62
	v_lshrrev_b16 v11, 8, v11
	v_lshrrev_b16 v99, 2, v12
	v_sub_nc_u16 v21, v66, v11
	v_mul_lo_u16 v12, v99, 7
	v_lshrrev_b16 v21, 1, v21
	v_sub_nc_u16 v101, v56, v12
	v_and_b32_e32 v21, 0x7f, v21
	v_lshlrev_b32_sdwa v24, v17, v101 dst_sel:DWORD dst_unused:UNUSED_PAD src0_sel:DWORD src1_sel:BYTE_0
	v_add_nc_u16 v11, v21, v11
	v_mul_lo_u16 v21, v22, 37
	v_lshrrev_b16 v98, 2, v11
	v_mul_lo_u16 v11, v98, 7
	v_sub_nc_u16 v100, v66, v11
	v_mul_lo_u16 v11, v23, 37
	v_lshlrev_b32_sdwa v12, v17, v100 dst_sel:DWORD dst_unused:UNUSED_PAD src0_sel:DWORD src1_sel:BYTE_0
	v_lshrrev_b16 v11, 8, v11
	s_clause 0x1
	global_load_dwordx4 v[74:77], v12, s[8:9]
	global_load_dwordx4 v[78:81], v24, s[8:9]
	v_lshrrev_b16 v12, 8, v21
	v_sub_nc_u16 v21, v58, v11
	ds_read2_b64 v[83:86], v44 offset0:112 offset1:128
	v_sub_nc_u16 v24, v62, v12
	v_lshrrev_b16 v21, 1, v21
	v_lshrrev_b16 v35, 1, v24
	v_and_b32_e32 v21, 0x7f, v21
	v_and_b32_e32 v24, 0xff, v63
	;; [unrolled: 1-line block ×3, first 2 shown]
	v_add_nc_u16 v11, v21, v11
	v_mul_lo_u16 v21, v24, 37
	v_add_nc_u16 v12, v35, v12
	v_lshrrev_b16 v102, 2, v11
	v_lshrrev_b16 v11, 8, v21
	;; [unrolled: 1-line block ×3, first 2 shown]
	v_mul_lo_u16 v12, v102, 7
	v_sub_nc_u16 v21, v63, v11
	v_mul_lo_u16 v35, v103, 7
	v_sub_nc_u16 v104, v58, v12
	v_lshrrev_b16 v12, 1, v21
	v_sub_nc_u16 v105, v62, v35
	v_lshlrev_b32_sdwa v21, v17, v104 dst_sel:DWORD dst_unused:UNUSED_PAD src0_sel:DWORD src1_sel:BYTE_0
	v_and_b32_e32 v12, 0x7f, v12
	v_lshlrev_b32_sdwa v35, v17, v105 dst_sel:DWORD dst_unused:UNUSED_PAD src0_sel:DWORD src1_sel:BYTE_0
	s_clause 0x1
	global_load_dwordx4 v[87:90], v21, s[8:9]
	global_load_dwordx4 v[91:94], v35, s[8:9]
	v_add_nc_u16 v21, v12, v11
	v_lshrrev_b16 v106, 2, v21
	v_mul_lo_u16 v21, v106, 7
	v_sub_nc_u16 v107, v63, v21
	v_lshlrev_b32_sdwa v21, v17, v107 dst_sel:DWORD dst_unused:UNUSED_PAD src0_sel:DWORD src1_sel:BYTE_0
	s_waitcnt vmcnt(5) lgkmcnt(0)
	v_mul_f64 v[11:12], v[83:84], v[51:52]
	v_mul_f64 v[35:36], v[27:28], v[51:52]
	v_fma_f64 v[53:54], v[27:28], v[49:50], v[11:12]
	v_fma_f64 v[35:36], v[83:84], v[49:50], -v[35:36]
	global_load_dwordx4 v[49:52], v21, s[8:9]
	v_mov_b32_e32 v21, 3
	v_lshlrev_b32_sdwa v111, v21, v100 dst_sel:DWORD dst_unused:UNUSED_PAD src0_sel:DWORD src1_sel:BYTE_0
	v_lshlrev_b32_sdwa v112, v21, v101 dst_sel:DWORD dst_unused:UNUSED_PAD src0_sel:DWORD src1_sel:BYTE_0
	;; [unrolled: 1-line block ×6, first 2 shown]
	v_add3_u32 v57, v57, v59, v10
	v_add_f64 v[53:54], v[0:1], -v[53:54]
	s_waitcnt vmcnt(5)
	v_mul_f64 v[11:12], v[85:86], v[72:73]
	v_fma_f64 v[0:1], v[0:1], 2.0, -v[53:54]
	v_fma_f64 v[83:84], v[29:30], v[70:71], v[11:12]
	v_mul_f64 v[11:12], v[29:30], v[72:73]
	ds_read2_b64 v[27:30], v44 offset0:144 offset1:160
	v_add_f64 v[83:84], v[15:16], -v[83:84]
	v_fma_f64 v[70:71], v[85:86], v[70:71], -v[11:12]
	s_waitcnt vmcnt(4) lgkmcnt(0)
	v_mul_f64 v[11:12], v[27:28], v[76:77]
	v_mul_f64 v[72:73], v[31:32], v[76:77]
	s_waitcnt vmcnt(3)
	v_mul_f64 v[76:77], v[29:30], v[80:81]
	v_fma_f64 v[15:16], v[15:16], 2.0, -v[83:84]
	v_fma_f64 v[85:86], v[31:32], v[74:75], v[11:12]
	v_mul_f64 v[11:12], v[33:34], v[80:81]
	v_fma_f64 v[27:28], v[27:28], v[74:75], -v[72:73]
	v_fma_f64 v[72:73], v[33:34], v[78:79], v[76:77]
	ds_read2_b64 v[31:34], v44 offset0:176 offset1:192
	v_add_f64 v[85:86], v[13:14], -v[85:86]
	v_fma_f64 v[29:30], v[29:30], v[78:79], -v[11:12]
	s_waitcnt vmcnt(2) lgkmcnt(0)
	v_mul_f64 v[74:75], v[31:32], v[89:90]
	v_mul_f64 v[11:12], v[45:46], v[89:90]
	ds_read_b64 v[78:79], v44 offset:1664
	s_waitcnt vmcnt(1)
	v_mul_f64 v[76:77], v[33:34], v[93:94]
	v_mul_f64 v[80:81], v[47:48], v[93:94]
	v_and_b32_e32 v93, 0xffff, v102
	v_and_b32_e32 v94, 0xffff, v103
	ds_read_b64 v[89:90], v41
	v_add_f64 v[72:73], v[2:3], -v[72:73]
	v_mad_u32_u24 v108, 0x70, v93, 0
	v_mad_u32_u24 v109, 0x70, v94, 0
	v_add3_u32 v108, v108, v104, v10
	v_add3_u32 v109, v109, v105, v10
	v_fma_f64 v[13:14], v[13:14], 2.0, -v[85:86]
	v_fma_f64 v[45:46], v[45:46], v[87:88], v[74:75]
	ds_read_b64 v[74:75], v43
	v_fma_f64 v[31:32], v[31:32], v[87:88], -v[11:12]
	v_fma_f64 v[47:48], v[47:48], v[91:92], v[76:77]
	v_fma_f64 v[33:34], v[33:34], v[91:92], -v[80:81]
	v_lshlrev_b32_sdwa v91, v21, v97 dst_sel:DWORD dst_unused:UNUSED_PAD src0_sel:DWORD src1_sel:BYTE_0
	ds_read_b64 v[76:77], v40
	v_and_b32_e32 v92, 0xffff, v99
	v_add_nc_u32_e32 v11, -14, v64
	v_fma_f64 v[2:3], v[2:3], 2.0, -v[72:73]
	v_add3_u32 v55, v55, v91, v10
	v_and_b32_e32 v91, 0xffff, v98
	v_mov_b32_e32 v12, 0
	v_cndmask_b32_e64 v11, v11, v64, s0
	v_mad_u32_u24 v103, 0x70, v91, 0
	v_lshlrev_b64 v[80:81], 4, v[11:12]
	v_lshlrev_b32_e32 v11, 3, v11
	s_waitcnt lgkmcnt(1)
	v_add_f64 v[70:71], v[74:75], -v[70:71]
	v_add_f64 v[45:46], v[4:5], -v[45:46]
	v_add3_u32 v59, v103, v111, v10
	v_add_co_u32 v80, s0, s8, v80
	s_waitcnt lgkmcnt(0)
	v_add_f64 v[35:36], v[76:77], -v[35:36]
	v_add_f64 v[47:48], v[6:7], -v[47:48]
	v_add_co_ci_u32_e64 v81, s0, s9, v81, s0
	v_cmp_lt_u32_e64 s0, 13, v64
	v_fma_f64 v[74:75], v[74:75], 2.0, -v[70:71]
	v_fma_f64 v[4:5], v[4:5], 2.0, -v[45:46]
	;; [unrolled: 1-line block ×4, first 2 shown]
	s_waitcnt vmcnt(0)
	v_mul_f64 v[87:88], v[78:79], v[51:52]
	v_mul_f64 v[51:52], v[95:96], v[51:52]
	v_fma_f64 v[87:88], v[95:96], v[49:50], v[87:88]
	v_fma_f64 v[49:50], v[78:79], v[49:50], -v[51:52]
	v_and_b32_e32 v95, 0xffff, v106
	v_mad_u32_u24 v106, 0x70, v92, 0
	ds_read_b64 v[51:52], v37
	ds_read_b64 v[78:79], v38
	ds_read_b64 v[91:92], v39
	ds_read_b64 v[93:94], v42
	s_waitcnt lgkmcnt(0)
	s_barrier
	v_mad_u32_u24 v110, 0x70, v95, 0
	v_add_f64 v[95:96], v[89:90], -v[27:28]
	v_add3_u32 v111, v106, v112, v10
	buffer_gl0_inv
	v_add3_u32 v107, v110, v107, v10
	v_add_f64 v[97:98], v[51:52], -v[29:30]
	v_add_f64 v[99:100], v[78:79], -v[31:32]
	;; [unrolled: 1-line block ×5, first 2 shown]
	v_fma_f64 v[89:90], v[89:90], 2.0, -v[95:96]
	v_fma_f64 v[51:52], v[51:52], 2.0, -v[97:98]
	;; [unrolled: 1-line block ×6, first 2 shown]
	ds_write2_b64 v55, v[0:1], v[53:54] offset1:7
	ds_write2_b64 v57, v[15:16], v[83:84] offset1:7
	;; [unrolled: 1-line block ×7, first 2 shown]
	s_waitcnt lgkmcnt(0)
	s_barrier
	buffer_gl0_inv
	ds_read_b64 v[8:9], v40
	ds_read_b64 v[0:1], v37
	;; [unrolled: 1-line block ×7, first 2 shown]
	ds_read_b64 v[105:106], v44 offset:1664
	ds_read2_b64 v[13:16], v44 offset0:112 offset1:128
	ds_read2_b64 v[27:30], v44 offset0:144 offset1:160
	;; [unrolled: 1-line block ×3, first 2 shown]
	s_waitcnt lgkmcnt(0)
	s_barrier
	buffer_gl0_inv
	ds_write2_b64 v55, v[76:77], v[35:36] offset1:7
	ds_write2_b64 v57, v[74:75], v[70:71] offset1:7
	;; [unrolled: 1-line block ×7, first 2 shown]
	s_waitcnt lgkmcnt(0)
	s_barrier
	buffer_gl0_inv
	global_load_dwordx4 v[45:48], v[80:81], off offset:112
	v_lshrrev_b16 v55, 10, v25
	v_mul_lo_u16 v25, v55, 14
	v_and_b32_e32 v55, 0xffff, v55
	v_sub_nc_u16 v57, v68, v25
	v_mad_u32_u24 v55, 0xe0, v55, 0
	v_lshlrev_b32_sdwa v25, v17, v57 dst_sel:DWORD dst_unused:UNUSED_PAD src0_sel:DWORD src1_sel:BYTE_0
	v_lshlrev_b32_sdwa v57, v21, v57 dst_sel:DWORD dst_unused:UNUSED_PAD src0_sel:DWORD src1_sel:BYTE_0
	global_load_dwordx4 v[49:52], v25, s[8:9] offset:112
	v_lshrrev_b16 v25, 1, v26
	v_lshrrev_b16 v26, 1, v18
	v_add3_u32 v55, v55, v57, v10
	v_lshrrev_b16 v18, 2, v18
	v_mul_lo_u16 v25, 0x93, v25
	v_mul_lo_u16 v26, 0x93, v26
	;; [unrolled: 1-line block ×3, first 2 shown]
	v_lshrrev_b16 v59, 10, v25
	v_lshrrev_b16 v93, 10, v26
	v_mul_lo_u16 v25, v59, 14
	v_mul_lo_u16 v26, v93, 14
	v_and_b32_e32 v59, 0xffff, v59
	v_sub_nc_u16 v94, v66, v25
	v_sub_nc_u16 v95, v56, v26
	v_mad_u32_u24 v59, 0xe0, v59, 0
	v_lshlrev_b32_sdwa v25, v17, v94 dst_sel:DWORD dst_unused:UNUSED_PAD src0_sel:DWORD src1_sel:BYTE_0
	v_lshlrev_b32_sdwa v26, v17, v95 dst_sel:DWORD dst_unused:UNUSED_PAD src0_sel:DWORD src1_sel:BYTE_0
	s_clause 0x1
	global_load_dwordx4 v[70:73], v25, s[8:9] offset:112
	global_load_dwordx4 v[74:77], v26, s[8:9] offset:112
	v_lshrrev_b16 v25, 1, v23
	v_lshrrev_b16 v26, 1, v22
	ds_read2_b64 v[78:81], v44 offset0:112 offset1:128
	v_lshlrev_b32_sdwa v107, v21, v95 dst_sel:DWORD dst_unused:UNUSED_PAD src0_sel:DWORD src1_sel:BYTE_0
	v_lshrrev_b16 v23, 2, v23
	v_mul_lo_u16 v25, 0x93, v25
	v_mul_lo_u16 v26, 0x93, v26
	v_lshrrev_b16 v22, 2, v22
	v_mul_lo_u16 v23, v23, 37
	v_lshrrev_b16 v96, 10, v25
	v_lshrrev_b16 v97, 10, v26
	v_mul_lo_u16 v22, v22, 37
	v_lshrrev_b16 v23, 8, v23
	v_mul_lo_u16 v25, v96, 14
	v_mul_lo_u16 v26, v97, 14
	;; [unrolled: 1-line block ×3, first 2 shown]
	v_sub_nc_u16 v98, v58, v25
	v_sub_nc_u16 v99, v62, v26
	v_lshrrev_b16 v26, 1, v24
	v_lshlrev_b32_sdwa v25, v17, v98 dst_sel:DWORD dst_unused:UNUSED_PAD src0_sel:DWORD src1_sel:BYTE_0
	v_lshlrev_b32_sdwa v35, v17, v99 dst_sel:DWORD dst_unused:UNUSED_PAD src0_sel:DWORD src1_sel:BYTE_0
	v_mul_lo_u16 v91, 0x93, v26
	v_lshlrev_b32_sdwa v98, v21, v98 dst_sel:DWORD dst_unused:UNUSED_PAD src0_sel:DWORD src1_sel:BYTE_0
	v_lshlrev_b32_sdwa v99, v21, v99 dst_sel:DWORD dst_unused:UNUSED_PAD src0_sel:DWORD src1_sel:BYTE_0
	s_clause 0x1
	global_load_dwordx4 v[83:86], v25, s[8:9] offset:112
	global_load_dwordx4 v[87:90], v35, s[8:9] offset:112
	v_lshrrev_b16 v100, 10, v91
	s_waitcnt vmcnt(5) lgkmcnt(0)
	v_mul_f64 v[25:26], v[78:79], v[47:48]
	v_mul_f64 v[35:36], v[13:14], v[47:48]
	v_mul_lo_u16 v47, v100, 14
	v_sub_nc_u16 v101, v63, v47
	v_lshlrev_b32_sdwa v47, v17, v101 dst_sel:DWORD dst_unused:UNUSED_PAD src0_sel:DWORD src1_sel:BYTE_0
	v_lshlrev_b32_sdwa v101, v21, v101 dst_sel:DWORD dst_unused:UNUSED_PAD src0_sel:DWORD src1_sel:BYTE_0
	v_fma_f64 v[91:92], v[13:14], v[45:46], v[25:26]
	v_fma_f64 v[35:36], v[78:79], v[45:46], -v[35:36]
	global_load_dwordx4 v[45:48], v47, s[8:9] offset:112
	s_waitcnt vmcnt(5)
	v_mul_f64 v[13:14], v[80:81], v[51:52]
	v_add_f64 v[91:92], v[8:9], -v[91:92]
	v_fma_f64 v[78:79], v[15:16], v[49:50], v[13:14]
	v_mul_f64 v[13:14], v[15:16], v[51:52]
	s_waitcnt vmcnt(4)
	v_mul_f64 v[51:52], v[27:28], v[72:73]
	v_fma_f64 v[8:9], v[8:9], 2.0, -v[91:92]
	v_add_f64 v[78:79], v[103:104], -v[78:79]
	v_fma_f64 v[49:50], v[80:81], v[49:50], -v[13:14]
	ds_read2_b64 v[13:16], v44 offset0:144 offset1:160
	s_waitcnt lgkmcnt(0)
	v_mul_f64 v[25:26], v[13:14], v[72:73]
	s_waitcnt vmcnt(3)
	v_mul_f64 v[72:73], v[15:16], v[76:77]
	v_fma_f64 v[51:52], v[13:14], v[70:71], -v[51:52]
	v_mul_f64 v[13:14], v[29:30], v[76:77]
	s_waitcnt vmcnt(1)
	v_mul_f64 v[76:77], v[33:34], v[89:90]
	v_fma_f64 v[80:81], v[27:28], v[70:71], v[25:26]
	ds_read2_b64 v[25:28], v44 offset0:176 offset1:192
	v_fma_f64 v[29:30], v[29:30], v[74:75], v[72:73]
	v_fma_f64 v[72:73], v[15:16], v[74:75], -v[13:14]
	ds_read_b64 v[74:75], v44 offset:1664
	v_mul_f64 v[13:14], v[31:32], v[85:86]
	s_waitcnt lgkmcnt(1)
	v_mul_f64 v[15:16], v[27:28], v[89:90]
	v_mul_f64 v[70:71], v[25:26], v[85:86]
	v_fma_f64 v[27:28], v[27:28], v[87:88], -v[76:77]
	v_and_b32_e32 v89, 0xffff, v97
	v_add_f64 v[80:81], v[53:54], -v[80:81]
	v_add_f64 v[29:30], v[0:1], -v[29:30]
	v_fma_f64 v[25:26], v[25:26], v[83:84], -v[13:14]
	v_lshlrev_b64 v[13:14], 4, v[64:65]
	v_mad_u32_u24 v102, 0xe0, v89, 0
	v_add_nc_u32_e32 v65, -12, v64
	v_add3_u32 v110, v102, v99, v10
	v_fma_f64 v[33:34], v[33:34], v[87:88], v[15:16]
	v_cndmask_b32_e64 v15, 0, 0xe0, s0
	v_fma_f64 v[31:32], v[31:32], v[83:84], v[70:71]
	ds_read_b64 v[70:71], v43
	ds_read_b64 v[83:84], v40
	v_and_b32_e32 v88, 0xffff, v96
	ds_read_b64 v[76:77], v41
	v_add_nc_u32_e32 v87, 0, v15
	v_fma_f64 v[0:1], v[0:1], 2.0, -v[29:30]
	v_add_co_u32 v15, s0, s8, v13
	v_add_co_ci_u32_e64 v16, s0, s9, v14, s0
	v_add3_u32 v11, v87, v11, v10
	v_and_b32_e32 v87, 0xffff, v93
	v_and_b32_e32 v93, 0xffff, v100
	v_mad_u32_u24 v100, 0xe0, v88, 0
	v_cmp_gt_u32_e64 s0, 28, v68
	v_mad_u32_u24 v97, 0xe0, v87, 0
	v_add3_u32 v109, v100, v98, v10
	s_waitcnt lgkmcnt(2)
	v_add_f64 v[49:50], v[70:71], -v[49:50]
	s_waitcnt lgkmcnt(1)
	v_add_f64 v[35:36], v[83:84], -v[35:36]
	v_add_f64 v[31:32], v[2:3], -v[31:32]
	s_waitcnt lgkmcnt(0)
	v_add_f64 v[51:52], v[76:77], -v[51:52]
	v_add_f64 v[33:34], v[4:5], -v[33:34]
	v_fma_f64 v[70:71], v[70:71], 2.0, -v[49:50]
	v_fma_f64 v[2:3], v[2:3], 2.0, -v[31:32]
	;; [unrolled: 1-line block ×4, first 2 shown]
	s_waitcnt vmcnt(0)
	v_mul_f64 v[85:86], v[74:75], v[47:48]
	v_mul_f64 v[47:48], v[105:106], v[47:48]
	v_fma_f64 v[85:86], v[105:106], v[45:46], v[85:86]
	v_fma_f64 v[45:46], v[74:75], v[45:46], -v[47:48]
	ds_read_b64 v[47:48], v37
	ds_read_b64 v[74:75], v38
	;; [unrolled: 1-line block ×4, first 2 shown]
	v_mad_u32_u24 v105, 0xe0, v93, 0
	v_lshlrev_b32_sdwa v106, v21, v94 dst_sel:DWORD dst_unused:UNUSED_PAD src0_sel:DWORD src1_sel:BYTE_0
	s_waitcnt lgkmcnt(0)
	s_barrier
	buffer_gl0_inv
	v_add3_u32 v111, v105, v101, v10
	v_add3_u32 v57, v59, v106, v10
	;; [unrolled: 1-line block ×3, first 2 shown]
	v_add_f64 v[72:73], v[47:48], -v[72:73]
	v_add_f64 v[93:94], v[74:75], -v[25:26]
	v_add_f64 v[95:96], v[87:88], -v[27:28]
	v_add_f64 v[85:86], v[6:7], -v[85:86]
	v_add_f64 v[45:46], v[89:90], -v[45:46]
	v_fma_f64 v[27:28], v[53:54], 2.0, -v[80:81]
	v_fma_f64 v[53:54], v[83:84], 2.0, -v[35:36]
	;; [unrolled: 1-line block ×8, first 2 shown]
	ds_write2_b64 v11, v[8:9], v[91:92] offset1:14
	ds_write2_b64 v55, v[25:26], v[78:79] offset1:14
	;; [unrolled: 1-line block ×7, first 2 shown]
	s_waitcnt lgkmcnt(0)
	s_barrier
	buffer_gl0_inv
	ds_read_b64 v[8:9], v40
	ds_read_b64 v[91:92], v37
	;; [unrolled: 1-line block ×7, first 2 shown]
	ds_read_b64 v[107:108], v44 offset:1664
	ds_read2_b64 v[0:3], v44 offset0:112 offset1:128
	ds_read2_b64 v[4:7], v44 offset0:144 offset1:160
	;; [unrolled: 1-line block ×3, first 2 shown]
	s_waitcnt lgkmcnt(0)
	s_barrier
	buffer_gl0_inv
	ds_write2_b64 v11, v[53:54], v[35:36] offset1:14
	ds_write2_b64 v55, v[70:71], v[49:50] offset1:14
	;; [unrolled: 1-line block ×7, first 2 shown]
	s_waitcnt lgkmcnt(0)
	s_barrier
	buffer_gl0_inv
	global_load_dwordx4 v[29:32], v[15:16], off offset:336
	v_cndmask_b32_e64 v11, v65, v68, s0
	v_lshrrev_b16 v55, 8, v18
	global_load_dwordx4 v[45:48], v[15:16], off offset:400
	v_lshrrev_b16 v59, 8, v22
	v_sub_nc_u16 v22, v58, v23
	v_lshlrev_b64 v[33:34], 4, v[11:12]
	v_mul_lo_u16 v18, v55, 28
	v_lshlrev_b32_e32 v11, 3, v11
	v_mul_lo_u16 v23, v59, 28
	v_and_b32_e32 v65, 0xff, v22
	v_add_co_u32 v33, s0, s8, v33
	v_add_co_ci_u32_e64 v34, s0, s9, v34, s0
	v_sub_nc_u16 v57, v56, v18
	v_lshrrev_b16 v18, 2, v24
	v_sub_nc_u16 v93, v62, v23
	global_load_dwordx4 v[33:36], v[33:34], off offset:336
	v_cmp_lt_u32_e64 s0, 27, v68
	v_lshlrev_b32_sdwa v24, v17, v57 dst_sel:DWORD dst_unused:UNUSED_PAD src0_sel:DWORD src1_sel:BYTE_0
	v_mul_lo_u16 v18, v18, 37
	v_lshlrev_b32_sdwa v17, v17, v93 dst_sel:DWORD dst_unused:UNUSED_PAD src0_sel:DWORD src1_sel:BYTE_0
	v_lshlrev_b64 v[68:69], 4, v[68:69]
	v_lshlrev_b32_sdwa v57, v21, v57 dst_sel:DWORD dst_unused:UNUSED_PAD src0_sel:DWORD src1_sel:BYTE_0
	global_load_dwordx4 v[49:52], v24, s[8:9] offset:336
	v_lshrrev_b16 v18, 8, v18
	v_lshlrev_b32_sdwa v93, v21, v93 dst_sel:DWORD dst_unused:UNUSED_PAD src0_sel:DWORD src1_sel:BYTE_0
	v_mul_lo_u16 v18, v18, 28
	v_sub_nc_u16 v18, v63, v18
	v_and_b32_e32 v94, 0xff, v18
	v_lshlrev_b32_e32 v18, 4, v65
	v_lshlrev_b32_e32 v22, 4, v94
	s_clause 0x2
	global_load_dwordx4 v[70:73], v18, s[8:9] offset:336
	global_load_dwordx4 v[74:77], v17, s[8:9] offset:336
	;; [unrolled: 1-line block ×3, first 2 shown]
	ds_read2_b64 v[83:86], v44 offset0:112 offset1:128
	ds_read2_b64 v[87:90], v44 offset0:144 offset1:160
	ds_read_b64 v[53:54], v44 offset:1664
	s_waitcnt vmcnt(6) lgkmcnt(2)
	v_mul_f64 v[17:18], v[83:84], v[31:32]
	v_mul_f64 v[22:23], v[0:1], v[31:32]
	s_waitcnt vmcnt(4)
	v_mul_f64 v[31:32], v[85:86], v[35:36]
	v_fma_f64 v[17:18], v[0:1], v[29:30], v[17:18]
	v_mul_f64 v[0:1], v[2:3], v[35:36]
	v_fma_f64 v[22:23], v[83:84], v[29:30], -v[22:23]
	s_waitcnt lgkmcnt(1)
	v_mul_f64 v[29:30], v[87:88], v[47:48]
	v_mul_f64 v[35:36], v[4:5], v[47:48]
	s_waitcnt vmcnt(3)
	v_mul_f64 v[47:48], v[89:90], v[51:52]
	v_mul_f64 v[51:52], v[6:7], v[51:52]
	v_fma_f64 v[31:32], v[2:3], v[33:34], v[31:32]
	v_fma_f64 v[33:34], v[85:86], v[33:34], -v[0:1]
	ds_read2_b64 v[0:3], v44 offset0:176 offset1:192
	v_fma_f64 v[4:5], v[4:5], v[45:46], v[29:30]
	v_fma_f64 v[29:30], v[87:88], v[45:46], -v[35:36]
	v_fma_f64 v[6:7], v[6:7], v[49:50], v[47:48]
	v_fma_f64 v[49:50], v[89:90], v[49:50], -v[51:52]
	s_waitcnt vmcnt(0) lgkmcnt(1)
	v_mul_f64 v[51:52], v[53:54], v[80:81]
	v_mul_f64 v[80:81], v[107:108], v[80:81]
	ds_read_b64 v[35:36], v43
	ds_read_b64 v[45:46], v40
	v_add_f64 v[31:32], v[105:106], -v[31:32]
	s_waitcnt lgkmcnt(2)
	v_mul_f64 v[47:48], v[0:1], v[72:73]
	v_mul_f64 v[72:73], v[25:26], v[72:73]
	v_mul_f64 v[83:84], v[2:3], v[76:77]
	v_mul_f64 v[76:77], v[27:28], v[76:77]
	v_add_f64 v[4:5], v[103:104], -v[4:5]
	v_add_f64 v[6:7], v[91:92], -v[6:7]
	s_waitcnt lgkmcnt(1)
	v_add_f64 v[33:34], v[35:36], -v[33:34]
	v_fma_f64 v[53:54], v[53:54], v[78:79], -v[80:81]
	v_fma_f64 v[24:25], v[25:26], v[70:71], v[47:48]
	v_fma_f64 v[47:48], v[107:108], v[78:79], v[51:52]
	ds_read_b64 v[51:52], v41
	v_fma_f64 v[0:1], v[0:1], v[70:71], -v[72:73]
	v_fma_f64 v[26:27], v[27:28], v[74:75], v[83:84]
	v_fma_f64 v[2:3], v[2:3], v[74:75], -v[76:77]
	ds_read_b64 v[70:71], v37
	ds_read_b64 v[72:73], v38
	;; [unrolled: 1-line block ×4, first 2 shown]
	v_cndmask_b32_e64 v28, 0, 0x1c0, s0
	v_add_f64 v[78:79], v[8:9], -v[17:18]
	v_add_co_u32 v17, s0, s8, v68
	v_add_co_ci_u32_e64 v18, s0, s9, v69, s0
	v_add_nc_u32_e32 v89, 0, v28
	v_and_b32_e32 v28, 0xffff, v55
	s_waitcnt lgkmcnt(5)
	v_add_f64 v[68:69], v[45:46], -v[22:23]
	v_fma_f64 v[35:36], v[35:36], 2.0, -v[33:34]
	v_and_b32_e32 v55, 0xffff, v59
	v_add3_u32 v59, 0, v20, v10
	v_mad_u32_u24 v90, 0x1c0, v28, 0
	v_fma_f64 v[20:21], v[91:92], 2.0, -v[6:7]
	v_add3_u32 v11, v89, v11, v10
	s_waitcnt lgkmcnt(4)
	v_add_f64 v[28:29], v[51:52], -v[29:30]
	s_waitcnt lgkmcnt(3)
	v_add_f64 v[49:50], v[70:71], -v[49:50]
	v_add_f64 v[24:25], v[97:98], -v[24:25]
	s_waitcnt lgkmcnt(2)
	v_add_f64 v[80:81], v[72:73], -v[0:1]
	v_add_f64 v[26:27], v[99:100], -v[26:27]
	s_waitcnt lgkmcnt(1)
	v_add_f64 v[83:84], v[74:75], -v[2:3]
	v_add_f64 v[47:48], v[101:102], -v[47:48]
	s_waitcnt lgkmcnt(0)
	v_add_f64 v[53:54], v[76:77], -v[53:54]
	v_fma_f64 v[0:1], v[8:9], 2.0, -v[78:79]
	v_fma_f64 v[2:3], v[105:106], 2.0, -v[31:32]
	v_fma_f64 v[8:9], v[103:104], 2.0, -v[4:5]
	v_mad_u32_u24 v55, 0x1c0, v55, 0
	v_add3_u32 v30, v90, v57, v10
	v_lshl_add_u32 v57, v65, 3, v19
	v_lshl_add_u32 v19, v94, 3, v19
	v_fma_f64 v[45:46], v[45:46], 2.0, -v[68:69]
	v_add3_u32 v55, v55, v93, v10
	s_barrier
	buffer_gl0_inv
	v_cmp_gt_u32_e64 s0, 56, v56
	v_fma_f64 v[51:52], v[51:52], 2.0, -v[28:29]
	v_fma_f64 v[70:71], v[70:71], 2.0, -v[49:50]
	;; [unrolled: 1-line block ×8, first 2 shown]
	ds_write2_b64 v44, v[0:1], v[78:79] offset1:28
	ds_write2_b64 v11, v[2:3], v[31:32] offset1:28
	ds_write2_b64 v59, v[8:9], v[4:5] offset0:60 offset1:88
	ds_write2_b64 v30, v[20:21], v[6:7] offset1:28
	ds_write2_b64 v57, v[22:23], v[24:25] offset0:112 offset1:140
	;; [unrolled: 2-line block ×3, first 2 shown]
	s_waitcnt lgkmcnt(0)
	s_barrier
	buffer_gl0_inv
	ds_read_b64 v[8:9], v40
	ds_read_b64 v[87:88], v37
	;; [unrolled: 1-line block ×7, first 2 shown]
	ds_read_b64 v[99:100], v44 offset:1664
	ds_read2_b64 v[0:3], v44 offset0:112 offset1:128
	ds_read2_b64 v[4:7], v44 offset0:144 offset1:160
	ds_read2_b64 v[21:24], v44 offset0:176 offset1:192
	s_waitcnt lgkmcnt(0)
	s_barrier
	buffer_gl0_inv
	ds_write2_b64 v44, v[45:46], v[68:69] offset1:28
	ds_write2_b64 v11, v[35:36], v[33:34] offset1:28
	ds_write2_b64 v59, v[51:52], v[28:29] offset0:60 offset1:88
	ds_write2_b64 v30, v[70:71], v[49:50] offset1:28
	ds_write2_b64 v57, v[72:73], v[80:81] offset0:112 offset1:140
	;; [unrolled: 2-line block ×3, first 2 shown]
	s_waitcnt lgkmcnt(0)
	s_barrier
	buffer_gl0_inv
	s_clause 0x1
	global_load_dwordx4 v[25:28], v[15:16], off offset:784
	global_load_dwordx4 v[29:32], v[17:18], off offset:784
	v_add_nc_u32_e32 v11, -8, v64
	v_lshlrev_b64 v[19:20], 4, v[66:67]
	v_cndmask_b32_e64 v11, v11, v56, s0
	v_add_co_u32 v19, s0, s8, v19
	v_add_co_ci_u32_e64 v20, s0, s9, v20, s0
	v_lshlrev_b64 v[33:34], 4, v[11:12]
	v_lshlrev_b32_e32 v11, 3, v11
	v_add_co_u32 v45, s0, s8, v33
	v_add_co_ci_u32_e64 v46, s0, s9, v34, s0
	s_clause 0x4
	global_load_dwordx4 v[33:36], v[19:20], off offset:784
	global_load_dwordx4 v[45:48], v[45:46], off offset:784
	;; [unrolled: 1-line block ×5, first 2 shown]
	ds_read2_b64 v[72:75], v44 offset0:112 offset1:128
	ds_read2_b64 v[76:79], v44 offset0:144 offset1:160
	;; [unrolled: 1-line block ×3, first 2 shown]
	ds_read_b64 v[101:102], v44 offset:1664
	v_cmp_lt_u32_e64 s0, 55, v56
	v_cndmask_b32_e64 v55, 0, 0x380, s0
	v_add_nc_u32_e32 v55, 0, v55
	v_add3_u32 v55, v55, v11, v10
	s_waitcnt vmcnt(6) lgkmcnt(3)
	v_mul_f64 v[53:54], v[72:73], v[27:28]
	v_mul_f64 v[27:28], v[0:1], v[27:28]
	s_waitcnt vmcnt(5)
	v_mul_f64 v[80:81], v[74:75], v[31:32]
	v_mul_f64 v[31:32], v[2:3], v[31:32]
	s_waitcnt vmcnt(4) lgkmcnt(2)
	v_mul_f64 v[103:104], v[76:77], v[35:36]
	v_fma_f64 v[0:1], v[0:1], v[25:26], v[53:54]
	v_fma_f64 v[25:26], v[72:73], v[25:26], -v[27:28]
	s_waitcnt vmcnt(3)
	v_mul_f64 v[27:28], v[78:79], v[47:48]
	s_waitcnt vmcnt(2) lgkmcnt(1)
	v_mul_f64 v[53:54], v[83:84], v[51:52]
	s_waitcnt vmcnt(1)
	v_mul_f64 v[72:73], v[85:86], v[66:67]
	v_fma_f64 v[2:3], v[2:3], v[29:30], v[80:81]
	ds_read_b64 v[80:81], v43
	v_fma_f64 v[29:30], v[74:75], v[29:30], -v[31:32]
	s_waitcnt vmcnt(0) lgkmcnt(1)
	v_mul_f64 v[74:75], v[101:102], v[70:71]
	v_mul_f64 v[35:36], v[4:5], v[35:36]
	;; [unrolled: 1-line block ×3, first 2 shown]
	ds_read_b64 v[31:32], v40
	v_fma_f64 v[4:5], v[4:5], v[33:34], v[103:104]
	v_add_f64 v[0:1], v[8:9], -v[0:1]
	v_fma_f64 v[6:7], v[6:7], v[45:46], v[27:28]
	v_mul_f64 v[27:28], v[21:22], v[51:52]
	v_mul_f64 v[51:52], v[23:24], v[66:67]
	v_fma_f64 v[21:22], v[21:22], v[49:50], v[53:54]
	v_fma_f64 v[23:24], v[23:24], v[64:65], v[72:73]
	v_mul_f64 v[53:54], v[99:100], v[70:71]
	ds_read_b64 v[70:71], v41
	v_fma_f64 v[66:67], v[99:100], v[68:69], v[74:75]
	v_add_f64 v[2:3], v[97:98], -v[2:3]
	v_fma_f64 v[33:34], v[76:77], v[33:34], -v[35:36]
	v_fma_f64 v[35:36], v[78:79], v[45:46], -v[47:48]
	ds_read_b64 v[45:46], v37
	ds_read_b64 v[47:48], v38
	;; [unrolled: 1-line block ×4, first 2 shown]
	s_waitcnt lgkmcnt(0)
	s_barrier
	buffer_gl0_inv
	v_add_f64 v[4:5], v[95:96], -v[4:5]
	v_fma_f64 v[8:9], v[8:9], 2.0, -v[0:1]
	v_add_f64 v[6:7], v[87:88], -v[6:7]
	v_fma_f64 v[27:28], v[83:84], v[49:50], -v[27:28]
	v_fma_f64 v[49:50], v[85:86], v[64:65], -v[51:52]
	v_add_f64 v[21:22], v[89:90], -v[21:22]
	v_add_f64 v[23:24], v[91:92], -v[23:24]
	v_fma_f64 v[51:52], v[101:102], v[68:69], -v[53:54]
	v_add_f64 v[64:65], v[31:32], -v[25:26]
	v_add_f64 v[53:54], v[93:94], -v[66:67]
	v_fma_f64 v[25:26], v[97:98], 2.0, -v[2:3]
	v_add_f64 v[66:67], v[80:81], -v[29:30]
	v_add_f64 v[68:69], v[70:71], -v[33:34]
	;; [unrolled: 1-line block ×3, first 2 shown]
	v_fma_f64 v[29:30], v[87:88], 2.0, -v[6:7]
	v_add_f64 v[78:79], v[47:48], -v[27:28]
	v_fma_f64 v[27:28], v[95:96], 2.0, -v[4:5]
	v_fma_f64 v[33:34], v[89:90], 2.0, -v[21:22]
	;; [unrolled: 1-line block ×3, first 2 shown]
	v_add_f64 v[49:50], v[72:73], -v[49:50]
	v_add_f64 v[51:52], v[74:75], -v[51:52]
	v_fma_f64 v[83:84], v[93:94], 2.0, -v[53:54]
	v_fma_f64 v[85:86], v[31:32], 2.0, -v[64:65]
	ds_write2_b64 v44, v[8:9], v[0:1] offset1:56
	ds_write2_b64 v43, v[25:26], v[2:3] offset1:56
	ds_write2_b64 v41, v[27:28], v[4:5] offset1:56
	ds_write2_b64 v55, v[29:30], v[6:7] offset1:56
	ds_write2_b64 v59, v[33:34], v[35:36] offset0:120 offset1:136
	ds_write2_b64 v59, v[83:84], v[21:22] offset0:152 offset1:176
	;; [unrolled: 1-line block ×3, first 2 shown]
	s_waitcnt lgkmcnt(0)
	s_barrier
	buffer_gl0_inv
	ds_read_b64 v[27:28], v40
	ds_read2_b64 v[8:11], v44 offset0:112 offset1:128
	ds_read_b64 v[25:26], v37
	ds_read_b64 v[21:22], v38
	;; [unrolled: 1-line block ×6, first 2 shown]
	ds_read_b64 v[35:36], v44 offset:1664
	ds_read2_b64 v[4:7], v44 offset0:144 offset1:160
	ds_read2_b64 v[0:3], v44 offset0:176 offset1:192
	v_fma_f64 v[80:81], v[80:81], 2.0, -v[66:67]
	v_fma_f64 v[70:71], v[70:71], 2.0, -v[68:69]
	v_fma_f64 v[45:46], v[45:46], 2.0, -v[76:77]
	v_fma_f64 v[47:48], v[47:48], 2.0, -v[78:79]
	v_fma_f64 v[72:73], v[72:73], 2.0, -v[49:50]
	v_fma_f64 v[74:75], v[74:75], 2.0, -v[51:52]
	s_waitcnt lgkmcnt(0)
	s_barrier
	buffer_gl0_inv
	ds_write2_b64 v44, v[85:86], v[64:65] offset1:56
	ds_write2_b64 v43, v[80:81], v[66:67] offset1:56
	;; [unrolled: 1-line block ×4, first 2 shown]
	ds_write2_b64 v59, v[47:48], v[72:73] offset0:120 offset1:136
	ds_write2_b64 v59, v[74:75], v[78:79] offset0:152 offset1:176
	;; [unrolled: 1-line block ×3, first 2 shown]
	s_waitcnt lgkmcnt(0)
	s_barrier
	buffer_gl0_inv
	s_and_saveexec_b32 s0, vcc_lo
	s_cbranch_execz .LBB0_15
; %bb.14:
	v_mov_b32_e32 v64, v12
	v_mov_b32_e32 v59, v12
	;; [unrolled: 1-line block ×3, first 2 shown]
	v_or_b32_e32 v103, 0xb00, v82
	v_or_b32_e32 v104, 0xc00, v82
	v_lshlrev_b64 v[45:46], 4, v[63:64]
	v_mov_b32_e32 v63, v12
	v_lshlrev_b64 v[58:59], 4, v[58:59]
	v_lshlrev_b64 v[55:56], 4, v[56:57]
	v_or_b32_e32 v12, 0x800, v82
	v_lshlrev_b64 v[53:54], 4, v[62:63]
	v_add_co_u32 v49, vcc_lo, s8, v45
	v_add_co_ci_u32_e32 v50, vcc_lo, s9, v46, vcc_lo
	s_clause 0x1
	global_load_dwordx4 v[45:48], v[17:18], off offset:1680
	global_load_dwordx4 v[15:18], v[15:16], off offset:1680
	v_add_co_u32 v53, vcc_lo, s8, v53
	v_add_co_ci_u32_e32 v54, vcc_lo, s9, v54, vcc_lo
	v_add_co_u32 v57, vcc_lo, s8, v58
	v_add_co_ci_u32_e32 v58, vcc_lo, s9, v59, vcc_lo
	;; [unrolled: 2-line block ×3, first 2 shown]
	s_clause 0x4
	global_load_dwordx4 v[49:52], v[49:50], off offset:1680
	global_load_dwordx4 v[53:56], v[53:54], off offset:1680
	global_load_dwordx4 v[62:65], v[57:58], off offset:1680
	global_load_dwordx4 v[66:69], v[66:67], off offset:1680
	global_load_dwordx4 v[70:73], v[19:20], off offset:1680
	ds_read2_b64 v[74:77], v44 offset0:112 offset1:128
	ds_read_b64 v[19:20], v44 offset:1664
	ds_read2_b64 v[78:81], v44 offset0:176 offset1:192
	ds_read2_b64 v[83:86], v44 offset0:144 offset1:160
	ds_read_b64 v[89:90], v41
	ds_read_b64 v[43:44], v43
	;; [unrolled: 1-line block ×3, first 2 shown]
	v_add_co_u32 v101, vcc_lo, s2, v60
	v_add_co_ci_u32_e32 v102, vcc_lo, s3, v61, vcc_lo
	v_or_b32_e32 v59, 0x900, v82
	v_or_b32_e32 v60, 0xa00, v82
	;; [unrolled: 1-line block ×3, first 2 shown]
	s_waitcnt vmcnt(6)
	v_mul_f64 v[57:58], v[10:11], v[47:48]
	s_waitcnt lgkmcnt(6)
	v_mul_f64 v[47:48], v[76:77], v[47:48]
	s_waitcnt vmcnt(5)
	v_mul_f64 v[87:88], v[8:9], v[17:18]
	v_mul_f64 v[17:18], v[74:75], v[17:18]
	s_waitcnt vmcnt(3)
	v_mul_f64 v[93:94], v[2:3], v[55:56]
	s_waitcnt vmcnt(2)
	v_mul_f64 v[95:96], v[0:1], v[64:65]
	v_mul_f64 v[40:41], v[35:36], v[51:52]
	s_waitcnt lgkmcnt(5)
	v_mul_f64 v[51:52], v[19:20], v[51:52]
	s_waitcnt vmcnt(1)
	v_mul_f64 v[97:98], v[6:7], v[68:69]
	s_waitcnt lgkmcnt(3)
	v_mul_f64 v[68:69], v[85:86], v[68:69]
	v_mul_f64 v[64:65], v[78:79], v[64:65]
	;; [unrolled: 1-line block ×3, first 2 shown]
	v_fma_f64 v[57:58], v[76:77], v[45:46], -v[57:58]
	v_fma_f64 v[10:11], v[10:11], v[45:46], v[47:48]
	s_waitcnt vmcnt(0)
	v_mul_f64 v[45:46], v[4:5], v[72:73]
	v_mul_f64 v[47:48], v[83:84], v[72:73]
	v_fma_f64 v[72:73], v[74:75], v[15:16], -v[87:88]
	v_fma_f64 v[8:9], v[8:9], v[15:16], v[17:18]
	ds_read_b64 v[74:75], v42
	ds_read_b64 v[76:77], v39
	;; [unrolled: 1-line block ×4, first 2 shown]
	v_fma_f64 v[15:16], v[19:20], v[49:50], -v[40:41]
	v_fma_f64 v[17:18], v[35:36], v[49:50], v[51:52]
	v_fma_f64 v[19:20], v[80:81], v[53:54], -v[93:94]
	v_fma_f64 v[39:40], v[85:86], v[66:67], -v[97:98]
	v_fma_f64 v[41:42], v[6:7], v[66:67], v[68:69]
	v_fma_f64 v[49:50], v[2:3], v[53:54], v[55:56]
	s_waitcnt lgkmcnt(5)
	v_add_f64 v[2:3], v[43:44], -v[57:58]
	v_fma_f64 v[35:36], v[83:84], v[70:71], -v[45:46]
	v_fma_f64 v[37:38], v[4:5], v[70:71], v[47:48]
	v_fma_f64 v[45:46], v[78:79], v[62:63], -v[95:96]
	v_fma_f64 v[47:48], v[0:1], v[62:63], v[64:65]
	s_waitcnt lgkmcnt(4)
	v_add_f64 v[6:7], v[91:92], -v[72:73]
	v_add_f64 v[4:5], v[27:28], -v[8:9]
	v_add_co_u32 v63, vcc_lo, v101, v13
	v_add_f64 v[0:1], v[33:34], -v[10:11]
	v_add_co_ci_u32_e32 v64, vcc_lo, v102, v14, vcc_lo
	v_add_co_u32 v65, vcc_lo, v101, v12
	s_waitcnt lgkmcnt(3)
	v_add_f64 v[10:11], v[74:75], -v[15:16]
	v_add_f64 v[8:9], v[31:32], -v[17:18]
	s_waitcnt lgkmcnt(2)
	v_add_f64 v[14:15], v[76:77], -v[19:20]
	v_add_co_ci_u32_e32 v66, vcc_lo, 0, v102, vcc_lo
	v_add_f64 v[12:13], v[23:24], -v[49:50]
	v_add_co_u32 v67, vcc_lo, v101, v59
	v_add_co_ci_u32_e32 v68, vcc_lo, 0, v102, vcc_lo
	v_add_f64 v[18:19], v[89:90], -v[35:36]
	v_add_f64 v[16:17], v[29:30], -v[37:38]
	s_waitcnt lgkmcnt(0)
	v_add_f64 v[37:38], v[99:100], -v[39:40]
	v_add_f64 v[35:36], v[25:26], -v[41:42]
	;; [unrolled: 1-line block ×4, first 2 shown]
	v_fma_f64 v[49:50], v[91:92], 2.0, -v[6:7]
	v_fma_f64 v[47:48], v[27:28], 2.0, -v[4:5]
	;; [unrolled: 1-line block ×4, first 2 shown]
	v_add_co_u32 v69, vcc_lo, v101, v60
	v_fma_f64 v[33:34], v[74:75], 2.0, -v[10:11]
	v_fma_f64 v[31:32], v[31:32], 2.0, -v[8:9]
	;; [unrolled: 1-line block ×3, first 2 shown]
	v_add_co_ci_u32_e32 v70, vcc_lo, 0, v102, vcc_lo
	v_add_co_u32 v20, vcc_lo, v101, v103
	v_fma_f64 v[53:54], v[89:90], 2.0, -v[18:19]
	v_fma_f64 v[51:52], v[29:30], 2.0, -v[16:17]
	v_fma_f64 v[57:58], v[99:100], 2.0, -v[37:38]
	v_fma_f64 v[55:56], v[25:26], 2.0, -v[35:36]
	v_fma_f64 v[61:62], v[87:88], 2.0, -v[41:42]
	v_fma_f64 v[59:60], v[21:22], 2.0, -v[39:40]
	v_fma_f64 v[25:26], v[23:24], 2.0, -v[12:13]
	v_add_co_ci_u32_e32 v21, vcc_lo, 0, v102, vcc_lo
	v_add_co_u32 v22, vcc_lo, v101, v104
	v_add_co_ci_u32_e32 v23, vcc_lo, 0, v102, vcc_lo
	v_add_co_u32 v29, vcc_lo, v101, v82
	v_add_co_ci_u32_e32 v30, vcc_lo, 0, v102, vcc_lo
	global_store_dwordx4 v[63:64], v[4:7], off offset:1792
	global_store_dwordx4 v[63:64], v[47:50], off
	global_store_dwordx4 v[63:64], v[43:46], off offset:256
	global_store_dwordx4 v[65:66], v[0:3], off
	;; [unrolled: 2-line block ×7, first 2 shown]
.LBB0_15:
	s_endpgm
	.section	.rodata,"a",@progbits
	.p2align	6, 0x0
	.amdhsa_kernel fft_rtc_back_len224_factors_7_2_2_2_2_2_wgs_64_tpt_16_halfLds_dp_ip_CI_unitstride_sbrr_dirReg
		.amdhsa_group_segment_fixed_size 0
		.amdhsa_private_segment_fixed_size 0
		.amdhsa_kernarg_size 88
		.amdhsa_user_sgpr_count 6
		.amdhsa_user_sgpr_private_segment_buffer 1
		.amdhsa_user_sgpr_dispatch_ptr 0
		.amdhsa_user_sgpr_queue_ptr 0
		.amdhsa_user_sgpr_kernarg_segment_ptr 1
		.amdhsa_user_sgpr_dispatch_id 0
		.amdhsa_user_sgpr_flat_scratch_init 0
		.amdhsa_user_sgpr_private_segment_size 0
		.amdhsa_wavefront_size32 1
		.amdhsa_uses_dynamic_stack 0
		.amdhsa_system_sgpr_private_segment_wavefront_offset 0
		.amdhsa_system_sgpr_workgroup_id_x 1
		.amdhsa_system_sgpr_workgroup_id_y 0
		.amdhsa_system_sgpr_workgroup_id_z 0
		.amdhsa_system_sgpr_workgroup_info 0
		.amdhsa_system_vgpr_workitem_id 0
		.amdhsa_next_free_vgpr 113
		.amdhsa_next_free_sgpr 24
		.amdhsa_reserve_vcc 1
		.amdhsa_reserve_flat_scratch 0
		.amdhsa_float_round_mode_32 0
		.amdhsa_float_round_mode_16_64 0
		.amdhsa_float_denorm_mode_32 3
		.amdhsa_float_denorm_mode_16_64 3
		.amdhsa_dx10_clamp 1
		.amdhsa_ieee_mode 1
		.amdhsa_fp16_overflow 0
		.amdhsa_workgroup_processor_mode 1
		.amdhsa_memory_ordered 1
		.amdhsa_forward_progress 0
		.amdhsa_shared_vgpr_count 0
		.amdhsa_exception_fp_ieee_invalid_op 0
		.amdhsa_exception_fp_denorm_src 0
		.amdhsa_exception_fp_ieee_div_zero 0
		.amdhsa_exception_fp_ieee_overflow 0
		.amdhsa_exception_fp_ieee_underflow 0
		.amdhsa_exception_fp_ieee_inexact 0
		.amdhsa_exception_int_div_zero 0
	.end_amdhsa_kernel
	.text
.Lfunc_end0:
	.size	fft_rtc_back_len224_factors_7_2_2_2_2_2_wgs_64_tpt_16_halfLds_dp_ip_CI_unitstride_sbrr_dirReg, .Lfunc_end0-fft_rtc_back_len224_factors_7_2_2_2_2_2_wgs_64_tpt_16_halfLds_dp_ip_CI_unitstride_sbrr_dirReg
                                        ; -- End function
	.section	.AMDGPU.csdata,"",@progbits
; Kernel info:
; codeLenInByte = 9936
; NumSgprs: 26
; NumVgprs: 113
; ScratchSize: 0
; MemoryBound: 1
; FloatMode: 240
; IeeeMode: 1
; LDSByteSize: 0 bytes/workgroup (compile time only)
; SGPRBlocks: 3
; VGPRBlocks: 14
; NumSGPRsForWavesPerEU: 26
; NumVGPRsForWavesPerEU: 113
; Occupancy: 8
; WaveLimiterHint : 1
; COMPUTE_PGM_RSRC2:SCRATCH_EN: 0
; COMPUTE_PGM_RSRC2:USER_SGPR: 6
; COMPUTE_PGM_RSRC2:TRAP_HANDLER: 0
; COMPUTE_PGM_RSRC2:TGID_X_EN: 1
; COMPUTE_PGM_RSRC2:TGID_Y_EN: 0
; COMPUTE_PGM_RSRC2:TGID_Z_EN: 0
; COMPUTE_PGM_RSRC2:TIDIG_COMP_CNT: 0
	.text
	.p2alignl 6, 3214868480
	.fill 48, 4, 3214868480
	.type	__hip_cuid_69ee477b1632eb83,@object ; @__hip_cuid_69ee477b1632eb83
	.section	.bss,"aw",@nobits
	.globl	__hip_cuid_69ee477b1632eb83
__hip_cuid_69ee477b1632eb83:
	.byte	0                               ; 0x0
	.size	__hip_cuid_69ee477b1632eb83, 1

	.ident	"AMD clang version 19.0.0git (https://github.com/RadeonOpenCompute/llvm-project roc-6.4.0 25133 c7fe45cf4b819c5991fe208aaa96edf142730f1d)"
	.section	".note.GNU-stack","",@progbits
	.addrsig
	.addrsig_sym __hip_cuid_69ee477b1632eb83
	.amdgpu_metadata
---
amdhsa.kernels:
  - .args:
      - .actual_access:  read_only
        .address_space:  global
        .offset:         0
        .size:           8
        .value_kind:     global_buffer
      - .offset:         8
        .size:           8
        .value_kind:     by_value
      - .actual_access:  read_only
        .address_space:  global
        .offset:         16
        .size:           8
        .value_kind:     global_buffer
      - .actual_access:  read_only
        .address_space:  global
        .offset:         24
        .size:           8
        .value_kind:     global_buffer
      - .offset:         32
        .size:           8
        .value_kind:     by_value
      - .actual_access:  read_only
        .address_space:  global
        .offset:         40
        .size:           8
        .value_kind:     global_buffer
      - .actual_access:  read_only
        .address_space:  global
        .offset:         48
        .size:           8
        .value_kind:     global_buffer
      - .offset:         56
        .size:           4
        .value_kind:     by_value
      - .actual_access:  read_only
        .address_space:  global
        .offset:         64
        .size:           8
        .value_kind:     global_buffer
      - .actual_access:  read_only
        .address_space:  global
        .offset:         72
        .size:           8
        .value_kind:     global_buffer
      - .address_space:  global
        .offset:         80
        .size:           8
        .value_kind:     global_buffer
    .group_segment_fixed_size: 0
    .kernarg_segment_align: 8
    .kernarg_segment_size: 88
    .language:       OpenCL C
    .language_version:
      - 2
      - 0
    .max_flat_workgroup_size: 64
    .name:           fft_rtc_back_len224_factors_7_2_2_2_2_2_wgs_64_tpt_16_halfLds_dp_ip_CI_unitstride_sbrr_dirReg
    .private_segment_fixed_size: 0
    .sgpr_count:     26
    .sgpr_spill_count: 0
    .symbol:         fft_rtc_back_len224_factors_7_2_2_2_2_2_wgs_64_tpt_16_halfLds_dp_ip_CI_unitstride_sbrr_dirReg.kd
    .uniform_work_group_size: 1
    .uses_dynamic_stack: false
    .vgpr_count:     113
    .vgpr_spill_count: 0
    .wavefront_size: 32
    .workgroup_processor_mode: 1
amdhsa.target:   amdgcn-amd-amdhsa--gfx1030
amdhsa.version:
  - 1
  - 2
...

	.end_amdgpu_metadata
